;; amdgpu-corpus repo=ROCm/rocFFT kind=compiled arch=gfx906 opt=O3
	.text
	.amdgcn_target "amdgcn-amd-amdhsa--gfx906"
	.amdhsa_code_object_version 6
	.protected	fft_rtc_fwd_len160_factors_4_10_4_wgs_192_tpt_16_sp_ip_CI_sbcc_twdbase6_3step_dirReg_intrinsicReadWrite ; -- Begin function fft_rtc_fwd_len160_factors_4_10_4_wgs_192_tpt_16_sp_ip_CI_sbcc_twdbase6_3step_dirReg_intrinsicReadWrite
	.globl	fft_rtc_fwd_len160_factors_4_10_4_wgs_192_tpt_16_sp_ip_CI_sbcc_twdbase6_3step_dirReg_intrinsicReadWrite
	.p2align	8
	.type	fft_rtc_fwd_len160_factors_4_10_4_wgs_192_tpt_16_sp_ip_CI_sbcc_twdbase6_3step_dirReg_intrinsicReadWrite,@function
fft_rtc_fwd_len160_factors_4_10_4_wgs_192_tpt_16_sp_ip_CI_sbcc_twdbase6_3step_dirReg_intrinsicReadWrite: ; @fft_rtc_fwd_len160_factors_4_10_4_wgs_192_tpt_16_sp_ip_CI_sbcc_twdbase6_3step_dirReg_intrinsicReadWrite
; %bb.0:
	s_load_dwordx8 s[8:15], s[4:5], 0x8
	s_movk_i32 s0, 0xc0
	v_cmp_gt_u32_e32 vcc, s0, v0
	s_and_saveexec_b64 s[0:1], vcc
	s_cbranch_execz .LBB0_2
; %bb.1:
	v_lshlrev_b32_e32 v3, 3, v0
	s_waitcnt lgkmcnt(0)
	global_load_dwordx2 v[1:2], v3, s[8:9]
	v_add_u32_e32 v3, 0, v3
	s_waitcnt vmcnt(0)
	ds_write_b64 v3, v[1:2] offset:15360
.LBB0_2:
	s_or_b64 exec, exec, s[0:1]
	s_waitcnt lgkmcnt(0)
	s_load_dwordx2 s[2:3], s[12:13], 0x8
	s_mov_b32 s7, 0
	s_mov_b64 s[24:25], 0
	s_waitcnt lgkmcnt(0)
	s_add_u32 s0, s2, -1
	s_addc_u32 s1, s3, -1
	s_add_u32 s8, 0, 0x55540000
	s_addc_u32 s9, 0, 0x55
	s_mul_hi_u32 s17, s8, -12
	s_add_i32 s9, s9, 0x15555500
	s_sub_i32 s17, s17, s8
	s_mul_i32 s20, s9, -12
	s_mul_i32 s16, s8, -12
	s_add_i32 s17, s17, s20
	s_mul_hi_u32 s18, s9, s16
	s_mul_i32 s19, s9, s16
	s_mul_i32 s21, s8, s17
	s_mul_hi_u32 s16, s8, s16
	s_mul_hi_u32 s20, s8, s17
	s_add_u32 s16, s16, s21
	s_addc_u32 s20, 0, s20
	s_add_u32 s16, s16, s19
	s_mul_hi_u32 s21, s9, s17
	s_addc_u32 s16, s20, s18
	s_addc_u32 s18, s21, 0
	s_mul_i32 s17, s9, s17
	s_add_u32 s16, s16, s17
	v_mov_b32_e32 v1, s16
	s_addc_u32 s17, 0, s18
	v_add_co_u32_e32 v1, vcc, s8, v1
	s_cmp_lg_u64 vcc, 0
	s_addc_u32 s8, s9, s17
	v_readfirstlane_b32 s17, v1
	s_mul_i32 s16, s0, s8
	s_mul_hi_u32 s18, s0, s17
	s_mul_hi_u32 s9, s0, s8
	s_add_u32 s16, s18, s16
	s_addc_u32 s9, 0, s9
	s_mul_hi_u32 s19, s1, s17
	s_mul_i32 s17, s1, s17
	s_add_u32 s16, s16, s17
	s_mul_hi_u32 s18, s1, s8
	s_addc_u32 s9, s9, s19
	s_addc_u32 s16, s18, 0
	s_mul_i32 s8, s1, s8
	s_add_u32 s8, s9, s8
	s_addc_u32 s9, 0, s16
	s_add_u32 s16, s8, 1
	s_addc_u32 s17, s9, 0
	s_add_u32 s18, s8, 2
	s_mul_i32 s20, s9, 12
	s_mul_hi_u32 s21, s8, 12
	s_addc_u32 s19, s9, 0
	s_add_i32 s21, s21, s20
	s_mul_i32 s20, s8, 12
	v_mov_b32_e32 v1, s20
	v_sub_co_u32_e32 v1, vcc, s0, v1
	s_cmp_lg_u64 vcc, 0
	s_subb_u32 s0, s1, s21
	v_subrev_co_u32_e32 v2, vcc, 12, v1
	s_cmp_lg_u64 vcc, 0
	s_subb_u32 s1, s0, 0
	v_readfirstlane_b32 s20, v2
	s_cmp_gt_u32 s20, 11
	s_cselect_b32 s20, -1, 0
	s_cmp_eq_u32 s1, 0
	s_cselect_b32 s1, s20, -1
	s_cmp_lg_u32 s1, 0
	s_cselect_b32 s1, s18, s16
	s_cselect_b32 s16, s19, s17
	v_readfirstlane_b32 s17, v1
	s_cmp_gt_u32 s17, 11
	s_cselect_b32 s17, -1, 0
	s_cmp_eq_u32 s0, 0
	s_cselect_b32 s0, s17, -1
	s_cmp_lg_u32 s0, 0
	s_cselect_b32 s1, s1, s8
	s_cselect_b32 s0, s16, s9
	s_add_u32 s22, s1, 1
	s_addc_u32 s23, s0, 0
	v_mov_b32_e32 v1, s22
	v_mov_b32_e32 v2, s23
	v_cmp_lt_u64_e32 vcc, s[6:7], v[1:2]
	s_cbranch_vccnz .LBB0_4
; %bb.3:
	v_cvt_f32_u32_e32 v1, s22
	s_sub_i32 s0, 0, s22
	s_mov_b32 s25, s7
	v_rcp_iflag_f32_e32 v1, v1
	v_mul_f32_e32 v1, 0x4f7ffffe, v1
	v_cvt_u32_f32_e32 v1, v1
	v_readfirstlane_b32 s1, v1
	s_mul_i32 s0, s0, s1
	s_mul_hi_u32 s0, s1, s0
	s_add_i32 s1, s1, s0
	s_mul_hi_u32 s0, s6, s1
	s_mul_i32 s8, s0, s22
	s_sub_i32 s8, s6, s8
	s_add_i32 s1, s0, 1
	s_sub_i32 s9, s8, s22
	s_cmp_ge_u32 s8, s22
	s_cselect_b32 s0, s1, s0
	s_cselect_b32 s8, s9, s8
	s_add_i32 s1, s0, 1
	s_cmp_ge_u32 s8, s22
	s_cselect_b32 s24, s1, s0
.LBB0_4:
	s_mul_i32 s0, s24, s23
	s_mul_hi_u32 s1, s24, s22
	s_load_dwordx2 s[8:9], s[4:5], 0x58
	s_load_dwordx2 s[20:21], s[4:5], 0x0
	s_load_dwordx4 s[16:19], s[14:15], 0x0
	s_add_i32 s1, s1, s0
	s_mul_i32 s0, s24, s22
	s_sub_u32 s33, s6, s0
	s_subb_u32 s0, 0, s1
	s_mul_i32 s0, s0, 12
	s_waitcnt lgkmcnt(0)
	s_mul_hi_u32 s17, s33, 12
	s_add_i32 s17, s17, s0
	s_mul_i32 s33, s33, 12
	s_mul_i32 s0, s18, s17
	s_mul_hi_u32 s1, s18, s33
	s_add_i32 s0, s1, s0
	s_mul_i32 s1, s19, s33
	s_add_i32 s36, s0, s1
	v_cmp_lt_u64_e64 s[0:1], s[10:11], 3
	s_mul_i32 s19, s18, s33
	s_and_b64 vcc, exec, s[0:1]
	s_cbranch_vccnz .LBB0_12
; %bb.5:
	s_add_u32 s4, s14, 16
	s_addc_u32 s5, s15, 0
	s_add_u32 s12, s12, 16
	v_mov_b32_e32 v1, s10
	s_addc_u32 s13, s13, 0
	s_mov_b64 s[26:27], 2
	s_mov_b32 s28, 0
	v_mov_b32_e32 v2, s11
.LBB0_6:                                ; =>This Inner Loop Header: Depth=1
	s_load_dwordx2 s[30:31], s[12:13], 0x0
	s_waitcnt lgkmcnt(0)
	s_or_b64 s[0:1], s[24:25], s[30:31]
	s_mov_b32 s29, s1
	s_cmp_lg_u64 s[28:29], 0
	s_cbranch_scc0 .LBB0_11
; %bb.7:                                ;   in Loop: Header=BB0_6 Depth=1
	v_cvt_f32_u32_e32 v3, s30
	v_cvt_f32_u32_e32 v4, s31
	s_sub_u32 s0, 0, s30
	s_subb_u32 s1, 0, s31
	v_mac_f32_e32 v3, 0x4f800000, v4
	v_rcp_f32_e32 v3, v3
	v_mul_f32_e32 v3, 0x5f7ffffc, v3
	v_mul_f32_e32 v4, 0x2f800000, v3
	v_trunc_f32_e32 v4, v4
	v_mac_f32_e32 v3, 0xcf800000, v4
	v_cvt_u32_f32_e32 v4, v4
	v_cvt_u32_f32_e32 v3, v3
	v_readfirstlane_b32 s29, v4
	v_readfirstlane_b32 s34, v3
	s_mul_i32 s35, s0, s29
	s_mul_hi_u32 s38, s0, s34
	s_mul_i32 s37, s1, s34
	s_add_i32 s35, s38, s35
	s_mul_i32 s39, s0, s34
	s_add_i32 s35, s35, s37
	s_mul_hi_u32 s37, s34, s35
	s_mul_i32 s38, s34, s35
	s_mul_hi_u32 s34, s34, s39
	s_add_u32 s34, s34, s38
	s_addc_u32 s37, 0, s37
	s_mul_hi_u32 s40, s29, s39
	s_mul_i32 s39, s29, s39
	s_add_u32 s34, s34, s39
	s_mul_hi_u32 s38, s29, s35
	s_addc_u32 s34, s37, s40
	s_addc_u32 s37, s38, 0
	s_mul_i32 s35, s29, s35
	s_add_u32 s34, s34, s35
	s_addc_u32 s35, 0, s37
	v_add_co_u32_e32 v3, vcc, s34, v3
	s_cmp_lg_u64 vcc, 0
	s_addc_u32 s29, s29, s35
	v_readfirstlane_b32 s35, v3
	s_mul_i32 s34, s0, s29
	s_mul_hi_u32 s37, s0, s35
	s_add_i32 s34, s37, s34
	s_mul_i32 s1, s1, s35
	s_add_i32 s34, s34, s1
	s_mul_i32 s0, s0, s35
	s_mul_hi_u32 s37, s29, s0
	s_mul_i32 s38, s29, s0
	s_mul_i32 s40, s35, s34
	s_mul_hi_u32 s0, s35, s0
	s_mul_hi_u32 s39, s35, s34
	s_add_u32 s0, s0, s40
	s_addc_u32 s35, 0, s39
	s_add_u32 s0, s0, s38
	s_mul_hi_u32 s1, s29, s34
	s_addc_u32 s0, s35, s37
	s_addc_u32 s1, s1, 0
	s_mul_i32 s34, s29, s34
	s_add_u32 s0, s0, s34
	s_addc_u32 s1, 0, s1
	v_add_co_u32_e32 v3, vcc, s0, v3
	s_cmp_lg_u64 vcc, 0
	s_addc_u32 s0, s29, s1
	v_readfirstlane_b32 s34, v3
	s_mul_i32 s29, s24, s0
	s_mul_hi_u32 s35, s24, s34
	s_mul_hi_u32 s1, s24, s0
	s_add_u32 s29, s35, s29
	s_addc_u32 s1, 0, s1
	s_mul_hi_u32 s37, s25, s34
	s_mul_i32 s34, s25, s34
	s_add_u32 s29, s29, s34
	s_mul_hi_u32 s35, s25, s0
	s_addc_u32 s1, s1, s37
	s_addc_u32 s29, s35, 0
	s_mul_i32 s0, s25, s0
	s_add_u32 s34, s1, s0
	s_addc_u32 s29, 0, s29
	s_mul_i32 s0, s30, s29
	s_mul_hi_u32 s1, s30, s34
	s_add_i32 s0, s1, s0
	s_mul_i32 s1, s31, s34
	s_add_i32 s35, s0, s1
	s_mul_i32 s1, s30, s34
	v_mov_b32_e32 v3, s1
	s_sub_i32 s0, s25, s35
	v_sub_co_u32_e32 v3, vcc, s24, v3
	s_cmp_lg_u64 vcc, 0
	s_subb_u32 s37, s0, s31
	v_subrev_co_u32_e64 v4, s[0:1], s30, v3
	s_cmp_lg_u64 s[0:1], 0
	s_subb_u32 s0, s37, 0
	s_cmp_ge_u32 s0, s31
	v_readfirstlane_b32 s37, v4
	s_cselect_b32 s1, -1, 0
	s_cmp_ge_u32 s37, s30
	s_cselect_b32 s37, -1, 0
	s_cmp_eq_u32 s0, s31
	s_cselect_b32 s0, s37, s1
	s_add_u32 s1, s34, 1
	s_addc_u32 s37, s29, 0
	s_add_u32 s38, s34, 2
	s_addc_u32 s39, s29, 0
	s_cmp_lg_u32 s0, 0
	s_cselect_b32 s0, s38, s1
	s_cselect_b32 s1, s39, s37
	s_cmp_lg_u64 vcc, 0
	s_subb_u32 s35, s25, s35
	s_cmp_ge_u32 s35, s31
	v_readfirstlane_b32 s38, v3
	s_cselect_b32 s37, -1, 0
	s_cmp_ge_u32 s38, s30
	s_cselect_b32 s38, -1, 0
	s_cmp_eq_u32 s35, s31
	s_cselect_b32 s35, s38, s37
	s_cmp_lg_u32 s35, 0
	s_cselect_b32 s1, s1, s29
	s_cselect_b32 s0, s0, s34
	s_cbranch_execnz .LBB0_9
.LBB0_8:                                ;   in Loop: Header=BB0_6 Depth=1
	v_cvt_f32_u32_e32 v3, s30
	s_sub_i32 s0, 0, s30
	v_rcp_iflag_f32_e32 v3, v3
	v_mul_f32_e32 v3, 0x4f7ffffe, v3
	v_cvt_u32_f32_e32 v3, v3
	v_readfirstlane_b32 s1, v3
	s_mul_i32 s0, s0, s1
	s_mul_hi_u32 s0, s1, s0
	s_add_i32 s1, s1, s0
	s_mul_hi_u32 s0, s24, s1
	s_mul_i32 s29, s0, s30
	s_sub_i32 s29, s24, s29
	s_add_i32 s1, s0, 1
	s_sub_i32 s34, s29, s30
	s_cmp_ge_u32 s29, s30
	s_cselect_b32 s0, s1, s0
	s_cselect_b32 s29, s34, s29
	s_add_i32 s1, s0, 1
	s_cmp_ge_u32 s29, s30
	s_cselect_b32 s0, s1, s0
	s_mov_b32 s1, s28
.LBB0_9:                                ;   in Loop: Header=BB0_6 Depth=1
	s_mul_i32 s23, s30, s23
	s_mul_hi_u32 s29, s30, s22
	s_add_i32 s23, s29, s23
	s_mul_i32 s29, s31, s22
	s_add_i32 s23, s23, s29
	s_mul_i32 s29, s0, s31
	s_mul_hi_u32 s31, s0, s30
	s_load_dwordx2 s[34:35], s[4:5], 0x0
	s_add_i32 s29, s31, s29
	s_mul_i32 s31, s1, s30
	s_mul_i32 s22, s30, s22
	s_add_i32 s29, s29, s31
	s_mul_i32 s30, s0, s30
	s_sub_u32 s24, s24, s30
	s_subb_u32 s25, s25, s29
	s_waitcnt lgkmcnt(0)
	s_mul_i32 s25, s34, s25
	s_mul_hi_u32 s29, s34, s24
	s_add_i32 s25, s29, s25
	s_mul_i32 s29, s35, s24
	s_add_i32 s25, s25, s29
	s_mul_i32 s24, s34, s24
	s_add_u32 s19, s24, s19
	s_addc_u32 s36, s25, s36
	s_add_u32 s26, s26, 1
	s_addc_u32 s27, s27, 0
	;; [unrolled: 2-line block ×3, first 2 shown]
	v_cmp_ge_u64_e32 vcc, s[26:27], v[1:2]
	s_add_u32 s12, s12, 8
	s_addc_u32 s13, s13, 0
	s_cbranch_vccnz .LBB0_13
; %bb.10:                               ;   in Loop: Header=BB0_6 Depth=1
	s_mov_b64 s[24:25], s[0:1]
	s_branch .LBB0_6
.LBB0_11:                               ;   in Loop: Header=BB0_6 Depth=1
                                        ; implicit-def: $sgpr0_sgpr1
	s_branch .LBB0_8
.LBB0_12:
	v_mov_b32_e32 v1, s24
	v_mov_b32_e32 v2, s25
	s_branch .LBB0_15
.LBB0_13:
	v_mov_b32_e32 v1, s22
	v_mov_b32_e32 v2, s23
	v_cmp_lt_u64_e32 vcc, s[6:7], v[1:2]
	v_mov_b32_e32 v1, 0
	v_mov_b32_e32 v2, 0
	s_cbranch_vccnz .LBB0_15
; %bb.14:
	v_cvt_f32_u32_e32 v1, s22
	s_sub_i32 s0, 0, s22
	v_rcp_iflag_f32_e32 v1, v1
	v_mul_f32_e32 v1, 0x4f7ffffe, v1
	v_cvt_u32_f32_e32 v1, v1
	v_mul_lo_u32 v2, s0, v1
	v_mul_hi_u32 v2, v1, v2
	v_add_u32_e32 v1, v1, v2
	v_mul_hi_u32 v1, s6, v1
	v_mul_lo_u32 v2, v1, s22
	v_add_u32_e32 v3, 1, v1
	v_sub_u32_e32 v2, s6, v2
	v_subrev_u32_e32 v4, s22, v2
	v_cmp_le_u32_e32 vcc, s22, v2
	v_cndmask_b32_e32 v2, v2, v4, vcc
	v_cndmask_b32_e32 v1, v1, v3, vcc
	v_add_u32_e32 v3, 1, v1
	v_cmp_le_u32_e32 vcc, s22, v2
	v_cndmask_b32_e32 v1, v1, v3, vcc
.LBB0_15:
	s_lshl_b64 s[0:1], s[10:11], 3
	s_add_u32 s0, s14, s0
	s_addc_u32 s1, s15, s1
	s_load_dword s0, s[0:1], 0x0
	s_mov_b32 s1, 0x15555556
	v_mul_hi_u32 v27, v0, s1
	v_mov_b32_e32 v3, s17
	s_mov_b32 s11, 0x20000
	s_waitcnt lgkmcnt(0)
	v_mul_lo_u32 v2, s0, v1
	v_mul_u32_u24_e32 v1, 12, v27
	v_sub_u32_e32 v1, v0, v1
	v_add_co_u32_e32 v14, vcc, s33, v1
	v_add_u32_e32 v4, s19, v2
	v_addc_co_u32_e32 v15, vcc, 0, v3, vcc
	s_add_u32 s0, s33, 12
	v_mad_u64_u32 v[12:13], s[4:5], s18, v1, 0
	v_mul_lo_u32 v28, s16, v27
	v_mov_b32_e32 v2, s2
	s_addc_u32 s1, s17, 0
	v_mov_b32_e32 v3, s3
	v_cmp_le_u64_e64 s[0:1], s[0:1], v[2:3]
	v_cmp_gt_u64_e32 vcc, s[2:3], v[14:15]
	v_add_lshl_u32 v2, v12, v28, 3
	v_cndmask_b32_e64 v21, 0, 1, vcc
	s_or_b64 vcc, s[0:1], vcc
	v_cndmask_b32_e32 v10, -1, v2, vcc
	v_add_u32_e32 v2, 40, v27
	v_mul_lo_u32 v29, s16, v2
	v_add_u32_e32 v3, 0x50, v27
	v_lshlrev_b32_e32 v13, 3, v4
	v_mul_lo_u32 v3, s16, v3
	v_add_u32_e32 v4, 0x78, v27
	v_mul_lo_u32 v4, s16, v4
	v_add_lshl_u32 v2, v12, v29, 3
	v_cndmask_b32_e32 v11, -1, v2, vcc
	v_add_lshl_u32 v2, v12, v3, 3
	v_cndmask_b32_e32 v15, -1, v2, vcc
	v_add_lshl_u32 v2, v12, v4, 3
	s_mov_b32 s10, -2
	v_readfirstlane_b32 s6, v13
	v_cndmask_b32_e32 v16, -1, v2, vcc
	v_add_u32_e32 v30, 16, v27
	s_nop 2
	buffer_load_dwordx2 v[2:3], v10, s[8:11], s6 offen
	buffer_load_dwordx2 v[4:5], v11, s[8:11], s6 offen
	;; [unrolled: 1-line block ×4, first 2 shown]
	v_add_u32_e32 v10, 56, v27
	v_or_b32_e32 v11, 0x60, v27
	v_add_u32_e32 v15, 0x88, v27
	v_mul_lo_u32 v16, s16, v30
	v_mul_lo_u32 v10, s16, v10
	;; [unrolled: 1-line block ×4, first 2 shown]
	v_add_lshl_u32 v16, v12, v16, 3
	v_add_lshl_u32 v10, v12, v10, 3
	;; [unrolled: 1-line block ×4, first 2 shown]
	v_cndmask_b32_e32 v22, -1, v16, vcc
	v_or_b32_e32 v31, 32, v27
	v_cndmask_b32_e32 v23, -1, v10, vcc
	v_cndmask_b32_e32 v24, -1, v11, vcc
	v_cndmask_b32_e32 v25, -1, v15, vcc
	buffer_load_dwordx2 v[10:11], v22, s[8:11], s6 offen
	buffer_load_dwordx2 v[15:16], v25, s[8:11], s6 offen
	;; [unrolled: 1-line block ×4, first 2 shown]
	v_mul_lo_u32 v22, s16, v31
	s_movk_i32 s2, 0x60
	s_movk_i32 s3, 0x5f
	v_cmp_lt_u32_e64 s[4:5], s3, v0
	v_cmp_gt_u32_e64 s[2:3], s2, v0
	v_cndmask_b32_e64 v0, 0, 1, s[2:3]
	s_or_b64 s[0:1], s[4:5], s[0:1]
	v_cndmask_b32_e64 v0, v21, v0, s[0:1]
	v_add_lshl_u32 v21, v12, v22, 3
	v_add_u32_e32 v22, 0x48, v27
	v_mul_lo_u32 v22, s16, v22
	v_and_b32_e32 v0, 1, v0
	v_add_u32_e32 v23, 0x70, v27
	v_cmp_eq_u32_e64 s[0:1], 1, v0
	v_mul_lo_u32 v23, s16, v23
	v_cndmask_b32_e64 v0, -1, v21, s[0:1]
	v_add_lshl_u32 v21, v12, v22, 3
	v_add_u32_e32 v22, 0x98, v27
	v_mul_lo_u32 v25, s16, v22
	v_cndmask_b32_e64 v34, -1, v21, s[0:1]
	v_add_lshl_u32 v21, v12, v23, 3
	v_cndmask_b32_e64 v26, -1, v21, s[0:1]
	buffer_load_dwordx2 v[21:22], v0, s[8:11], s6 offen
	buffer_load_dwordx2 v[23:24], v26, s[8:11], s6 offen
	v_add_lshl_u32 v0, v12, v25, 3
	v_cndmask_b32_e64 v0, -1, v0, s[0:1]
	buffer_load_dwordx2 v[25:26], v0, s[8:11], s6 offen
	buffer_load_dwordx2 v[32:33], v34, s[8:11], s6 offen
	s_waitcnt vmcnt(9)
	v_sub_f32_e32 v0, v2, v6
	v_sub_f32_e32 v34, v3, v7
	s_waitcnt vmcnt(8)
	v_sub_f32_e32 v7, v5, v9
	v_sub_f32_e32 v6, v4, v8
	v_fma_f32 v35, v3, 2.0, -v34
	v_sub_f32_e32 v3, v0, v7
	v_fma_f32 v9, v2, 2.0, -v0
	v_fma_f32 v2, v4, 2.0, -v6
	;; [unrolled: 1-line block ×4, first 2 shown]
	v_mul_u32_u24_e32 v0, 48, v27
	v_add_f32_e32 v4, v34, v6
	v_sub_f32_e32 v5, v9, v2
	v_lshl_add_u32 v2, v0, 3, 0
	v_lshlrev_b32_e32 v0, 3, v1
	v_sub_f32_e32 v6, v35, v8
	v_fma_f32 v8, v34, 2.0, -v4
	v_add_u32_e32 v34, v2, v0
	ds_write2_b64 v34, v[5:6], v[3:4] offset0:24 offset1:36
	v_fma_f32 v3, v9, 2.0, -v5
	v_fma_f32 v4, v35, 2.0, -v6
	ds_write2_b64 v34, v[3:4], v[7:8] offset1:12
	s_waitcnt vmcnt(5)
	v_sub_f32_e32 v3, v10, v17
	v_sub_f32_e32 v17, v11, v18
	s_waitcnt vmcnt(4)
	v_sub_f32_e32 v9, v19, v15
	v_sub_f32_e32 v8, v20, v16
	v_fma_f32 v6, v10, 2.0, -v3
	v_fma_f32 v7, v11, 2.0, -v17
	;; [unrolled: 1-line block ×4, first 2 shown]
	v_sub_f32_e32 v8, v3, v8
	v_sub_f32_e32 v4, v6, v4
	v_sub_f32_e32 v5, v7, v5
	v_add_f32_e32 v9, v17, v9
	v_fma_f32 v10, v3, 2.0, -v8
	v_add_u32_e32 v3, 0x1800, v2
	v_fma_f32 v6, v6, 2.0, -v4
	v_fma_f32 v7, v7, 2.0, -v5
	;; [unrolled: 1-line block ×3, first 2 shown]
	v_add_u32_e32 v15, v3, v0
	ds_write2_b64 v15, v[6:7], v[10:11] offset1:12
	ds_write2_b64 v15, v[4:5], v[8:9] offset0:24 offset1:36
	s_waitcnt vmcnt(2)
	v_sub_f32_e32 v4, v21, v23
	v_sub_f32_e32 v6, v22, v24
	v_fma_f32 v5, v21, 2.0, -v4
	s_waitcnt vmcnt(0)
	v_sub_f32_e32 v8, v32, v25
	v_sub_f32_e32 v9, v33, v26
	v_fma_f32 v7, v22, 2.0, -v6
	v_fma_f32 v10, v32, 2.0, -v8
	;; [unrolled: 1-line block ×3, first 2 shown]
	v_sub_f32_e32 v15, v5, v10
	v_sub_f32_e32 v16, v7, v11
	v_sub_f32_e32 v17, v4, v9
	v_add_f32_e32 v18, v6, v8
	s_and_saveexec_b64 s[4:5], s[2:3]
	s_cbranch_execz .LBB0_17
; %bb.16:
	v_lshl_add_u32 v1, v1, 3, v3
	v_fma_f32 v9, v6, 2.0, -v18
	v_fma_f32 v8, v4, 2.0, -v17
	;; [unrolled: 1-line block ×4, first 2 shown]
	v_add_u32_e32 v1, 0x1800, v1
	ds_write2_b64 v1, v[5:6], v[8:9] offset1:12
	ds_write2_b64 v1, v[15:16], v[17:18] offset0:24 offset1:36
.LBB0_17:
	s_or_b64 exec, exec, s[4:5]
	v_and_b32_e32 v1, 3, v27
	v_mul_u32_u24_e32 v4, 9, v1
	v_lshlrev_b32_e32 v32, 3, v4
	s_waitcnt lgkmcnt(0)
	s_barrier
	global_load_dwordx4 v[4:7], v32, s[20:21]
	global_load_dwordx2 v[54:55], v32, s[20:21] offset:64
	global_load_dwordx4 v[8:11], v32, s[20:21] offset:48
	global_load_dwordx4 v[19:22], v32, s[20:21] offset:32
	;; [unrolled: 1-line block ×3, first 2 shown]
	v_mul_i32_i24_e32 v32, 0xfffffee0, v30
	v_mul_i32_i24_e32 v34, 0xfffffee0, v27
	v_add3_u32 v33, v3, v32, v0
	v_add3_u32 v32, v2, v34, v0
	ds_read2st64_b64 v[34:37], v33 offset1:3
	ds_read2st64_b64 v[38:41], v32 offset0:24 offset1:27
	ds_read2st64_b64 v[42:45], v32 offset0:18 offset1:21
	ds_read2st64_b64 v[46:49], v32 offset0:12 offset1:15
	ds_read2st64_b64 v[50:53], v32 offset1:9
	s_waitcnt vmcnt(0) lgkmcnt(0)
	s_barrier
	s_mov_b32 s4, 0x3f737871
	s_mov_b32 s5, 0xbf737871
	v_mul_f32_e32 v2, v5, v35
	v_mul_f32_e32 v5, v5, v34
	;; [unrolled: 1-line block ×15, first 2 shown]
	v_fma_f32 v34, v4, v34, -v2
	v_mul_f32_e32 v2, v24, v53
	v_mul_f32_e32 v55, v40, v55
	v_fmac_f32_e32 v5, v4, v35
	v_fma_f32 v4, v6, v36, -v3
	v_fmac_f32_e32 v7, v6, v37
	v_mul_f32_e32 v6, v24, v52
	v_fma_f32 v24, v40, v54, -v56
	v_fma_f32 v35, v38, v10, -v57
	v_fmac_f32_e32 v11, v39, v10
	v_fma_f32 v10, v44, v8, -v58
	v_fmac_f32_e32 v9, v45, v8
	v_fma_f32 v8, v42, v21, -v59
	v_fmac_f32_e32 v22, v43, v21
	v_fma_f32 v21, v19, v48, -v60
	v_fmac_f32_e32 v20, v19, v49
	v_fma_f32 v19, v25, v46, -v61
	v_fmac_f32_e32 v26, v25, v47
	v_fma_f32 v25, v23, v52, -v2
	v_fmac_f32_e32 v55, v41, v54
	v_sub_f32_e32 v39, v4, v19
	v_sub_f32_e32 v40, v35, v8
	v_sub_f32_e32 v41, v7, v26
	v_sub_f32_e32 v42, v11, v22
	v_sub_f32_e32 v43, v25, v21
	v_sub_f32_e32 v44, v24, v10
	v_add_f32_e32 v48, v20, v9
	v_fmac_f32_e32 v6, v23, v53
	v_add_f32_e32 v2, v19, v8
	v_add_f32_e32 v3, v4, v35
	;; [unrolled: 1-line block ×6, first 2 shown]
	v_fma_f32 v44, -0.5, v48, v5
	v_add_f32_e32 v37, v50, v4
	v_sub_f32_e32 v45, v6, v20
	v_sub_f32_e32 v46, v55, v9
	;; [unrolled: 1-line block ×3, first 2 shown]
	v_fma_f32 v54, -0.5, v2, v50
	v_fma_f32 v50, -0.5, v3, v50
	;; [unrolled: 1-line block ×3, first 2 shown]
	v_mov_b32_e32 v3, v44
	v_sub_f32_e32 v49, v6, v55
	v_add_f32_e32 v42, v45, v46
	v_mov_b32_e32 v2, v43
	v_fmac_f32_e32 v3, 0xbf737871, v52
	v_sub_f32_e32 v45, v21, v10
	v_sub_f32_e32 v53, v20, v9
	v_fmac_f32_e32 v2, 0x3f737871, v49
	v_fmac_f32_e32 v3, 0xbf167918, v45
	;; [unrolled: 1-line block ×5, first 2 shown]
	v_mul_f32_e32 v46, 0x3f167918, v3
	v_fmac_f32_e32 v46, 0x3f4f1bbd, v2
	v_mul_f32_e32 v47, 0xbf167918, v2
	v_lshrrev_b32_e32 v2, 2, v27
	v_mul_u32_u24_e32 v2, 40, v2
	v_or_b32_e32 v1, v2, v1
	v_mul_u32_u24_e32 v1, 0x60, v1
	v_add3_u32 v48, 0, v1, v0
	v_add_f32_e32 v0, v37, v19
	v_add_f32_e32 v38, v51, v7
	v_add_f32_e32 v0, v0, v8
	v_add_f32_e32 v37, v0, v35
	v_add_f32_e32 v0, v38, v26
	v_add_f32_e32 v0, v0, v22
	v_add_f32_e32 v38, v0, v11
	v_add_f32_e32 v0, v34, v25
	v_add_f32_e32 v23, v26, v22
	v_add_f32_e32 v0, v0, v21
	v_add_f32_e32 v36, v7, v11
	v_fma_f32 v23, -0.5, v23, v51
	v_add_f32_e32 v0, v0, v10
	v_fma_f32 v36, -0.5, v36, v51
	v_sub_f32_e32 v51, v7, v11
	v_mov_b32_e32 v56, v54
	v_sub_f32_e32 v58, v4, v35
	v_mov_b32_e32 v59, v23
	v_add_f32_e32 v61, v0, v24
	v_add_f32_e32 v0, v5, v6
	v_fmac_f32_e32 v56, 0x3f737871, v51
	v_sub_f32_e32 v57, v26, v22
	v_fmac_f32_e32 v59, 0xbf737871, v58
	v_sub_f32_e32 v60, v19, v8
	v_add_f32_e32 v0, v0, v20
	v_fmac_f32_e32 v56, 0x3f167918, v57
	v_fmac_f32_e32 v59, 0xbf167918, v60
	v_add_f32_e32 v0, v0, v9
	v_fmac_f32_e32 v47, 0x3f4f1bbd, v3
	v_fmac_f32_e32 v56, 0x3e9e377a, v39
	;; [unrolled: 1-line block ×3, first 2 shown]
	v_add_f32_e32 v62, v0, v55
	v_add_f32_e32 v0, v37, v61
	;; [unrolled: 1-line block ×5, first 2 shown]
	ds_write2_b64 v48, v[0:1], v[2:3] offset1:48
	v_sub_f32_e32 v0, v19, v4
	v_mov_b32_e32 v4, v50
	v_sub_f32_e32 v1, v8, v35
	v_fmac_f32_e32 v4, 0xbf737871, v57
	v_fmac_f32_e32 v50, 0x3f737871, v57
	v_add_f32_e32 v0, v0, v1
	v_fmac_f32_e32 v4, 0x3f167918, v51
	v_fmac_f32_e32 v50, 0xbf167918, v51
	;; [unrolled: 1-line block ×4, first 2 shown]
	v_sub_f32_e32 v0, v26, v7
	v_mov_b32_e32 v7, v36
	v_sub_f32_e32 v1, v22, v11
	v_fmac_f32_e32 v7, 0x3f737871, v60
	v_fmac_f32_e32 v36, 0xbf737871, v60
	v_add_f32_e32 v0, v0, v1
	v_fmac_f32_e32 v7, 0xbf167918, v58
	v_fmac_f32_e32 v36, 0x3f167918, v58
	;; [unrolled: 1-line block ×4, first 2 shown]
	v_add_f32_e32 v0, v25, v24
	v_fmac_f32_e32 v34, -0.5, v0
	v_sub_f32_e32 v0, v21, v25
	v_sub_f32_e32 v1, v10, v24
	v_add_f32_e32 v0, v0, v1
	v_mov_b32_e32 v1, v34
	v_fmac_f32_e32 v1, 0xbf737871, v53
	v_fmac_f32_e32 v34, 0x3f737871, v53
	;; [unrolled: 1-line block ×6, first 2 shown]
	v_add_f32_e32 v0, v6, v55
	v_fmac_f32_e32 v5, -0.5, v0
	v_sub_f32_e32 v0, v20, v6
	v_sub_f32_e32 v2, v9, v55
	v_add_f32_e32 v0, v0, v2
	v_mov_b32_e32 v2, v5
	v_fmac_f32_e32 v2, 0x3f737871, v45
	v_fmac_f32_e32 v2, 0xbf167918, v52
	;; [unrolled: 1-line block ×8, first 2 shown]
	v_mul_f32_e32 v6, 0x3f737871, v2
	v_mul_f32_e32 v8, 0xbf737871, v1
	;; [unrolled: 1-line block ×3, first 2 shown]
	v_fmac_f32_e32 v43, 0xbf167918, v53
	v_fmac_f32_e32 v44, 0x3f167918, v45
	;; [unrolled: 1-line block ×4, first 2 shown]
	v_fma_f32 v9, v5, s4, -v0
	v_mul_f32_e32 v0, 0x3e9e377a, v5
	v_fmac_f32_e32 v54, 0xbf737871, v51
	v_fmac_f32_e32 v23, 0x3f737871, v58
	;; [unrolled: 1-line block ×4, first 2 shown]
	v_fma_f32 v10, v34, s5, -v0
	v_add_f32_e32 v0, v4, v6
	v_add_f32_e32 v1, v7, v8
	v_sub_f32_e32 v4, v4, v6
	v_sub_f32_e32 v5, v7, v8
	v_fmac_f32_e32 v54, 0xbf167918, v57
	v_fmac_f32_e32 v23, 0x3f167918, v60
	s_mov_b32 s4, 0x3f167918
	s_mov_b32 s5, 0xbf167918
	v_mul_f32_e32 v6, 0x3f4f1bbd, v43
	v_mul_f32_e32 v7, 0x3f4f1bbd, v44
	v_add_f32_e32 v2, v50, v9
	v_add_f32_e32 v3, v36, v10
	v_fmac_f32_e32 v54, 0x3e9e377a, v39
	v_fmac_f32_e32 v23, 0x3e9e377a, v40
	v_fma_f32 v8, v44, s4, -v6
	v_sub_f32_e32 v19, v50, v9
	v_fma_f32 v9, v43, s5, -v7
	ds_write2_b64 v48, v[0:1], v[2:3] offset0:96 offset1:144
	v_sub_f32_e32 v0, v37, v61
	v_sub_f32_e32 v1, v38, v62
	v_add_f32_e32 v6, v54, v8
	v_add_f32_e32 v7, v23, v9
	v_sub_f32_e32 v2, v56, v46
	v_sub_f32_e32 v3, v59, v47
	ds_write2_b64 v48, v[6:7], v[0:1] offset0:192 offset1:240
	v_add_u32_e32 v0, 0x800, v48
	v_sub_f32_e32 v20, v36, v10
	v_sub_f32_e32 v21, v54, v8
	;; [unrolled: 1-line block ×3, first 2 shown]
	ds_write2_b64 v0, v[2:3], v[4:5] offset0:32 offset1:80
	ds_write2_b64 v0, v[19:20], v[21:22] offset0:128 offset1:176
	v_add_u32_e32 v4, 0x100, v32
	s_waitcnt lgkmcnt(0)
	s_barrier
	ds_read2st64_b64 v[0:3], v4 offset0:7 offset1:10
	ds_read2st64_b64 v[4:7], v4 offset0:22 offset1:25
	ds_read_b64 v[25:26], v32
	ds_read_b64 v[23:24], v33
	ds_read2st64_b64 v[8:11], v32 offset0:15 offset1:18
	s_and_saveexec_b64 s[4:5], s[2:3]
	s_cbranch_execz .LBB0_19
; %bb.18:
	v_add_u32_e32 v17, 0x600, v33
	ds_read_b64 v[21:22], v32 offset:6912
	ds_read_b64 v[15:16], v32 offset:10752
	ds_read_b64 v[19:20], v17
	ds_read_b64 v[17:18], v32 offset:14592
.LBB0_19:
	s_or_b64 exec, exec, s[4:5]
	s_mov_b32 s2, 0x6666667
	v_mul_hi_u32 v33, v30, s2
	v_mul_u32_u24_e32 v32, 3, v27
	v_lshlrev_b32_e32 v32, 3, v32
	global_load_dwordx4 v[34:37], v32, s[20:21] offset:288
	global_load_dwordx2 v[46:47], v32, s[20:21] offset:304
	v_mul_hi_u32 v32, v31, s2
	v_mul_u32_u24_e32 v38, 40, v33
	v_sub_u32_e32 v54, v30, v38
	v_mov_b32_e32 v43, 0
	v_mul_i32_i24_e32 v42, 3, v54
	v_lshlrev_b64 v[38:39], 3, v[42:43]
	v_mul_u32_u24_e32 v42, 40, v32
	v_sub_u32_e32 v55, v31, v42
	v_mov_b32_e32 v51, s21
	v_add_co_u32_e64 v44, s[2:3], s20, v38
	v_mul_i32_i24_e32 v42, 3, v55
	v_addc_co_u32_e64 v45, s[2:3], v51, v39, s[2:3]
	v_lshlrev_b64 v[42:43], 3, v[42:43]
	global_load_dwordx4 v[38:41], v[44:45], off offset:288
	global_load_dwordx2 v[48:49], v[44:45], off offset:304
	v_add_co_u32_e64 v50, s[2:3], s20, v42
	v_addc_co_u32_e64 v51, s[2:3], v51, v43, s[2:3]
	global_load_dwordx4 v[42:45], v[50:51], off offset:288
	global_load_dwordx2 v[52:53], v[50:51], off offset:304
	s_add_i32 s2, 0, 0x3c00
	s_movk_i32 s3, 0x78
	s_waitcnt vmcnt(5) lgkmcnt(4)
	v_mul_f32_e32 v50, v35, v1
	v_mul_f32_e32 v35, v35, v0
	s_waitcnt lgkmcnt(0)
	v_mul_f32_e32 v51, v37, v9
	v_mul_f32_e32 v37, v37, v8
	v_fmac_f32_e32 v35, v34, v1
	v_fma_f32 v1, v36, v8, -v51
	v_fmac_f32_e32 v37, v36, v9
	s_waitcnt vmcnt(4)
	v_mul_f32_e32 v8, v47, v5
	v_mul_f32_e32 v9, v47, v4
	v_fma_f32 v0, v34, v0, -v50
	v_fma_f32 v4, v46, v4, -v8
	v_fmac_f32_e32 v9, v46, v5
	v_sub_f32_e32 v1, v25, v1
	v_sub_f32_e32 v4, v0, v4
	v_sub_f32_e32 v8, v35, v9
	v_fma_f32 v9, v25, 2.0, -v1
	v_fma_f32 v0, v0, 2.0, -v4
	v_sub_f32_e32 v34, v1, v8
	v_sub_f32_e32 v5, v26, v37
	v_sub_f32_e32 v36, v9, v0
	v_fma_f32 v37, v1, 2.0, -v34
	s_waitcnt vmcnt(3)
	v_mul_f32_e32 v0, v39, v3
	v_mul_f32_e32 v1, v39, v2
	v_fma_f32 v25, v26, 2.0, -v5
	v_fma_f32 v26, v35, 2.0, -v8
	v_add_f32_e32 v35, v5, v4
	v_mul_f32_e32 v4, v41, v11
	v_fma_f32 v0, v38, v2, -v0
	v_fmac_f32_e32 v1, v38, v3
	s_waitcnt vmcnt(2)
	v_mul_f32_e32 v2, v49, v7
	v_mul_f32_e32 v3, v49, v6
	v_sub_f32_e32 v26, v25, v26
	v_fma_f32 v46, v5, 2.0, -v35
	v_mul_f32_e32 v5, v41, v10
	v_fma_f32 v4, v40, v10, -v4
	v_fma_f32 v2, v48, v6, -v2
	v_fmac_f32_e32 v3, v48, v7
	v_fma_f32 v8, v9, 2.0, -v36
	v_fma_f32 v9, v25, 2.0, -v26
	v_fmac_f32_e32 v5, v40, v11
	s_waitcnt vmcnt(1)
	v_mul_f32_e32 v6, v22, v43
	v_mul_f32_e32 v10, v16, v45
	;; [unrolled: 1-line block ×3, first 2 shown]
	s_waitcnt vmcnt(0)
	v_mul_f32_e32 v25, v18, v53
	v_sub_f32_e32 v4, v23, v4
	v_sub_f32_e32 v2, v0, v2
	;; [unrolled: 1-line block ×3, first 2 shown]
	v_fma_f32 v6, v21, v42, -v6
	v_fma_f32 v10, v15, v44, -v10
	v_fmac_f32_e32 v11, v16, v44
	v_fma_f32 v15, v17, v52, -v25
	v_fma_f32 v16, v23, 2.0, -v4
	v_fma_f32 v0, v0, 2.0, -v2
	v_sub_f32_e32 v23, v4, v3
	v_mul_f32_e32 v7, v21, v43
	v_mul_f32_e32 v38, v17, v53
	v_sub_f32_e32 v5, v24, v5
	v_sub_f32_e32 v25, v16, v0
	v_fma_f32 v40, v4, 2.0, -v23
	v_sub_f32_e32 v0, v19, v10
	v_sub_f32_e32 v4, v6, v15
	v_fmac_f32_e32 v7, v22, v42
	v_fmac_f32_e32 v38, v18, v52
	v_fma_f32 v17, v24, 2.0, -v5
	v_add_f32_e32 v24, v5, v2
	v_fma_f32 v2, v19, 2.0, -v0
	v_fma_f32 v6, v6, 2.0, -v4
	;; [unrolled: 1-line block ×3, first 2 shown]
	v_sub_f32_e32 v5, v7, v38
	v_sub_f32_e32 v38, v2, v6
	v_fma_f32 v43, v2, 2.0, -v38
	v_mul_lo_u32 v2, v27, v14
	v_fma_f32 v1, v1, 2.0, -v3
	v_sub_f32_e32 v39, v17, v1
	v_sub_f32_e32 v1, v20, v11
	v_add_f32_e32 v47, v1, v4
	v_fma_f32 v3, v20, 2.0, -v1
	v_fma_f32 v7, v7, 2.0, -v5
	;; [unrolled: 1-line block ×3, first 2 shown]
	v_lshrrev_b32_e32 v1, 3, v2
	v_mul_lo_u32 v50, v14, 40
	v_sub_f32_e32 v42, v3, v7
	v_sub_f32_e32 v45, v0, v5
	v_and_b32_e32 v1, 0x1f8, v1
	v_fma_f32 v44, v3, 2.0, -v42
	v_fma_f32 v48, v0, 2.0, -v45
	v_and_b32_e32 v0, 63, v2
	v_add_u32_e32 v3, s2, v1
	v_lshrrev_b32_e32 v1, 9, v2
	v_lshl_add_u32 v0, v0, 3, 0
	v_and_b32_e32 v1, 0x1f8, v1
	v_add_u32_e32 v4, s2, v1
	v_add_u32_e32 v10, v2, v50
	ds_read_b64 v[0:1], v0 offset:15360
	ds_read_b64 v[2:3], v3 offset:512
	v_and_b32_e32 v5, 63, v10
	v_lshl_add_u32 v6, v5, 3, 0
	ds_read_b64 v[4:5], v4 offset:1024
	ds_read_b64 v[6:7], v6 offset:15360
	v_add_u32_e32 v15, v10, v50
	s_waitcnt lgkmcnt(2)
	v_mul_f32_e32 v11, v1, v3
	v_fma_f32 v11, v0, v2, -v11
	v_mul_f32_e32 v0, v0, v3
	v_fmac_f32_e32 v0, v1, v2
	s_waitcnt lgkmcnt(1)
	v_mul_f32_e32 v1, v0, v5
	v_fma_f32 v2, v4, v11, -v1
	v_mul_f32_e32 v1, v11, v5
	v_fmac_f32_e32 v1, v4, v0
	v_mul_f32_e32 v0, v9, v1
	v_mul_f32_e32 v1, v8, v1
	v_lshrrev_b32_e32 v3, 9, v10
	v_fma_f32 v0, v8, v2, -v0
	v_fmac_f32_e32 v1, v9, v2
	v_lshrrev_b32_e32 v2, 3, v10
	v_and_b32_e32 v3, 0x1f8, v3
	v_and_b32_e32 v2, 0x1f8, v2
	v_add_u32_e32 v4, s2, v3
	v_and_b32_e32 v3, 63, v15
	v_add_u32_e32 v2, s2, v2
	v_lshl_add_u32 v8, v3, 3, 0
	v_lshrrev_b32_e32 v3, 3, v15
	v_and_b32_e32 v5, 0x1f8, v3
	ds_read_b64 v[2:3], v2 offset:512
	v_add_u32_e32 v10, s2, v5
	ds_read_b64 v[4:5], v4 offset:1024
	ds_read_b64 v[8:9], v8 offset:15360
	;; [unrolled: 1-line block ×3, first 2 shown]
	v_fma_f32 v21, v16, 2.0, -v25
	v_fma_f32 v22, v17, 2.0, -v39
	s_waitcnt lgkmcnt(3)
	v_mul_f32_e32 v16, v7, v3
	v_mul_f32_e32 v3, v6, v3
	v_fma_f32 v16, v6, v2, -v16
	v_fmac_f32_e32 v3, v7, v2
	s_waitcnt lgkmcnt(2)
	v_mul_f32_e32 v2, v3, v5
	v_mul_f32_e32 v5, v16, v5
	v_fma_f32 v6, v4, v16, -v2
	v_fmac_f32_e32 v5, v4, v3
	s_waitcnt lgkmcnt(0)
	v_mul_f32_e32 v4, v9, v11
	v_mul_f32_e32 v2, v46, v5
	;; [unrolled: 1-line block ×3, first 2 shown]
	v_fma_f32 v16, v8, v10, -v4
	v_lshrrev_b32_e32 v4, 9, v15
	v_add_u32_e32 v5, v15, v50
	v_and_b32_e32 v4, 0x1f8, v4
	v_lshrrev_b32_e32 v7, 3, v5
	v_fma_f32 v2, v37, v6, -v2
	v_fmac_f32_e32 v3, v46, v6
	v_add_u32_e32 v4, s2, v4
	v_and_b32_e32 v6, 63, v5
	v_and_b32_e32 v7, 0x1f8, v7
	v_lshrrev_b32_e32 v5, 9, v5
	v_mul_f32_e32 v17, v8, v11
	v_add_u32_e32 v8, s2, v7
	v_and_b32_e32 v7, 0x1f8, v5
	ds_read_b64 v[4:5], v4 offset:1024
	v_fmac_f32_e32 v17, v9, v10
	v_lshl_add_u32 v6, v6, 3, 0
	v_add_u32_e32 v10, s2, v7
	ds_read_b64 v[6:7], v6 offset:15360
	ds_read_b64 v[8:9], v8 offset:512
	;; [unrolled: 1-line block ×3, first 2 shown]
	s_waitcnt lgkmcnt(3)
	v_mul_f32_e32 v15, v17, v5
	v_mul_f32_e32 v5, v16, v5
	v_fmac_f32_e32 v5, v4, v17
	v_fma_f32 v15, v4, v16, -v15
	v_mul_f32_e32 v4, v26, v5
	v_mul_f32_e32 v5, v36, v5
	v_fma_f32 v4, v36, v15, -v4
	v_fmac_f32_e32 v5, v26, v15
	s_waitcnt lgkmcnt(1)
	v_mul_f32_e32 v15, v7, v9
	v_fma_f32 v15, v6, v8, -v15
	v_mul_f32_e32 v6, v6, v9
	v_fmac_f32_e32 v6, v7, v8
	v_mul_lo_u32 v9, v54, v14
	s_waitcnt lgkmcnt(0)
	v_mul_f32_e32 v7, v6, v11
	v_fma_f32 v8, v10, v15, -v7
	v_mul_f32_e32 v7, v15, v11
	v_fmac_f32_e32 v7, v10, v6
	v_mul_f32_e32 v6, v35, v7
	v_mul_f32_e32 v7, v34, v7
	v_lshrrev_b32_e32 v10, 3, v9
	v_fma_f32 v6, v34, v8, -v6
	v_fmac_f32_e32 v7, v35, v8
	v_and_b32_e32 v8, 63, v9
	v_and_b32_e32 v10, 0x1f8, v10
	v_lshrrev_b32_e32 v11, 9, v9
	v_lshl_add_u32 v8, v8, 3, 0
	v_add_u32_e32 v10, s2, v10
	v_and_b32_e32 v11, 0x1f8, v11
	v_add_u32_e32 v15, s2, v11
	v_add_u32_e32 v19, v9, v50
	ds_read_b64 v[8:9], v8 offset:15360
	ds_read_b64 v[10:11], v10 offset:512
	v_and_b32_e32 v16, 63, v19
	v_lshl_add_u32 v17, v16, 3, 0
	ds_read_b64 v[15:16], v15 offset:1024
	ds_read_b64 v[17:18], v17 offset:15360
	v_add_u32_e32 v26, v19, v50
	s_waitcnt lgkmcnt(2)
	v_mul_f32_e32 v20, v9, v11
	v_fma_f32 v20, v8, v10, -v20
	v_mul_f32_e32 v8, v8, v11
	v_fmac_f32_e32 v8, v9, v10
	s_waitcnt lgkmcnt(1)
	v_mul_f32_e32 v9, v8, v16
	v_fma_f32 v10, v15, v20, -v9
	v_mul_f32_e32 v9, v20, v16
	v_fmac_f32_e32 v9, v15, v8
	v_mul_f32_e32 v8, v22, v9
	v_mul_f32_e32 v9, v21, v9
	v_lshrrev_b32_e32 v11, 9, v19
	v_fma_f32 v8, v21, v10, -v8
	v_fmac_f32_e32 v9, v22, v10
	v_lshrrev_b32_e32 v10, 3, v19
	v_and_b32_e32 v11, 0x1f8, v11
	v_and_b32_e32 v10, 0x1f8, v10
	v_add_u32_e32 v15, s2, v11
	v_and_b32_e32 v11, 63, v26
	v_add_u32_e32 v10, s2, v10
	v_lshl_add_u32 v19, v11, 3, 0
	v_lshrrev_b32_e32 v11, 3, v26
	v_and_b32_e32 v16, 0x1f8, v11
	ds_read_b64 v[10:11], v10 offset:512
	v_add_u32_e32 v21, s2, v16
	ds_read_b64 v[15:16], v15 offset:1024
	ds_read_b64 v[19:20], v19 offset:15360
	ds_read_b64 v[21:22], v21 offset:512
	v_mul_lo_u32 v14, v55, v14
	s_waitcnt lgkmcnt(3)
	v_mul_f32_e32 v34, v18, v11
	v_mul_f32_e32 v11, v17, v11
	v_fma_f32 v34, v17, v10, -v34
	v_fmac_f32_e32 v11, v18, v10
	s_waitcnt lgkmcnt(2)
	v_mul_f32_e32 v10, v11, v16
	v_mul_f32_e32 v16, v34, v16
	v_fma_f32 v17, v15, v34, -v10
	v_fmac_f32_e32 v16, v15, v11
	s_waitcnt lgkmcnt(0)
	v_mul_f32_e32 v15, v20, v22
	v_mul_f32_e32 v10, v41, v16
	;; [unrolled: 1-line block ×3, first 2 shown]
	v_fma_f32 v34, v19, v21, -v15
	v_lshrrev_b32_e32 v15, 9, v26
	v_add_u32_e32 v16, v26, v50
	v_and_b32_e32 v15, 0x1f8, v15
	v_lshrrev_b32_e32 v18, 3, v16
	v_fma_f32 v10, v40, v17, -v10
	v_fmac_f32_e32 v11, v41, v17
	v_add_u32_e32 v15, s2, v15
	v_and_b32_e32 v17, 63, v16
	v_and_b32_e32 v18, 0x1f8, v18
	v_lshrrev_b32_e32 v16, 9, v16
	v_mul_f32_e32 v35, v19, v22
	v_add_u32_e32 v19, s2, v18
	v_and_b32_e32 v18, 0x1f8, v16
	ds_read_b64 v[15:16], v15 offset:1024
	v_fmac_f32_e32 v35, v20, v21
	v_lshl_add_u32 v17, v17, 3, 0
	v_add_u32_e32 v21, s2, v18
	ds_read_b64 v[17:18], v17 offset:15360
	ds_read_b64 v[19:20], v19 offset:512
	;; [unrolled: 1-line block ×3, first 2 shown]
	s_waitcnt lgkmcnt(3)
	v_mul_f32_e32 v26, v35, v16
	v_mul_f32_e32 v16, v34, v16
	v_fmac_f32_e32 v16, v15, v35
	v_fma_f32 v26, v15, v34, -v26
	v_mul_f32_e32 v15, v39, v16
	v_fma_f32 v15, v25, v26, -v15
	v_mul_f32_e32 v16, v25, v16
	s_waitcnt lgkmcnt(1)
	v_mul_f32_e32 v25, v18, v20
	v_fma_f32 v25, v17, v19, -v25
	v_mul_f32_e32 v17, v17, v20
	v_fmac_f32_e32 v17, v18, v19
	s_waitcnt lgkmcnt(0)
	v_mul_f32_e32 v18, v17, v22
	v_fma_f32 v19, v21, v25, -v18
	v_mul_f32_e32 v18, v25, v22
	v_fmac_f32_e32 v18, v21, v17
	v_lshrrev_b32_e32 v20, 3, v14
	v_mul_f32_e32 v17, v24, v18
	v_mul_f32_e32 v18, v23, v18
	v_and_b32_e32 v20, 0x1f8, v20
	v_fma_f32 v17, v23, v19, -v17
	v_fmac_f32_e32 v18, v24, v19
	v_and_b32_e32 v19, 63, v14
	v_add_u32_e32 v21, s2, v20
	v_lshrrev_b32_e32 v20, 9, v14
	v_lshl_add_u32 v19, v19, 3, 0
	v_and_b32_e32 v20, 0x1f8, v20
	v_add_u32_e32 v23, s2, v20
	ds_read_b64 v[19:20], v19 offset:15360
	ds_read_b64 v[21:22], v21 offset:512
	v_add_u32_e32 v14, v14, v50
	v_and_b32_e32 v24, 63, v14
	v_lshl_add_u32 v25, v24, 3, 0
	v_fmac_f32_e32 v16, v39, v26
	ds_read_b64 v[23:24], v23 offset:1024
	ds_read_b64 v[25:26], v25 offset:15360
	s_waitcnt lgkmcnt(2)
	v_mul_f32_e32 v34, v20, v22
	v_fma_f32 v34, v19, v21, -v34
	v_mul_f32_e32 v19, v19, v22
	v_fmac_f32_e32 v19, v20, v21
	s_waitcnt lgkmcnt(1)
	v_mul_f32_e32 v20, v19, v24
	v_fma_f32 v21, v23, v34, -v20
	v_mul_f32_e32 v20, v34, v24
	v_fmac_f32_e32 v20, v23, v19
	v_mul_f32_e32 v19, v44, v20
	v_mul_f32_e32 v20, v43, v20
	v_lshrrev_b32_e32 v22, 9, v14
	v_fma_f32 v19, v43, v21, -v19
	v_fmac_f32_e32 v20, v44, v21
	v_lshrrev_b32_e32 v21, 3, v14
	v_and_b32_e32 v22, 0x1f8, v22
	v_add_u32_e32 v14, v14, v50
	v_and_b32_e32 v21, 0x1f8, v21
	v_add_u32_e32 v23, s2, v22
	;; [unrolled: 2-line block ×3, first 2 shown]
	v_lshl_add_u32 v34, v22, 3, 0
	v_lshrrev_b32_e32 v22, 3, v14
	v_and_b32_e32 v24, 0x1f8, v22
	ds_read_b64 v[21:22], v21 offset:512
	v_add_u32_e32 v36, s2, v24
	ds_read_b64 v[23:24], v23 offset:1024
	ds_read_b64 v[34:35], v34 offset:15360
	;; [unrolled: 1-line block ×3, first 2 shown]
	s_waitcnt lgkmcnt(3)
	v_mul_f32_e32 v39, v26, v22
	v_mul_f32_e32 v22, v25, v22
	v_fma_f32 v39, v25, v21, -v39
	v_fmac_f32_e32 v22, v26, v21
	s_waitcnt lgkmcnt(2)
	v_mul_f32_e32 v21, v22, v24
	v_mul_f32_e32 v24, v39, v24
	v_fma_f32 v25, v23, v39, -v21
	v_fmac_f32_e32 v24, v23, v22
	s_waitcnt lgkmcnt(0)
	v_mul_f32_e32 v23, v35, v37
	v_fma_f32 v39, v34, v36, -v23
	v_lshrrev_b32_e32 v23, 9, v14
	v_add_u32_e32 v14, v14, v50
	v_mul_f32_e32 v21, v49, v24
	v_mul_f32_e32 v22, v48, v24
	v_and_b32_e32 v24, 63, v14
	v_fma_f32 v21, v48, v25, -v21
	v_fmac_f32_e32 v22, v49, v25
	v_and_b32_e32 v23, 0x1f8, v23
	v_lshl_add_u32 v25, v24, 3, 0
	v_lshrrev_b32_e32 v24, 3, v14
	v_add_u32_e32 v23, s2, v23
	v_and_b32_e32 v24, 0x1f8, v24
	v_mul_f32_e32 v40, v34, v37
	v_add_u32_e32 v34, s2, v24
	ds_read_b64 v[23:24], v23 offset:1024
	v_lshrrev_b32_e32 v14, 9, v14
	v_and_b32_e32 v14, 0x1f8, v14
	v_fmac_f32_e32 v40, v35, v36
	v_add_u32_e32 v14, s2, v14
	ds_read_b64 v[25:26], v25 offset:15360
	ds_read_b64 v[34:35], v34 offset:512
	;; [unrolled: 1-line block ×3, first 2 shown]
	s_waitcnt lgkmcnt(3)
	v_mul_f32_e32 v14, v40, v24
	v_mul_f32_e32 v24, v39, v24
	v_fmac_f32_e32 v24, v23, v40
	v_fma_f32 v14, v23, v39, -v14
	v_mul_f32_e32 v23, v42, v24
	v_mul_f32_e32 v24, v38, v24
	v_fma_f32 v23, v38, v14, -v23
	v_fmac_f32_e32 v24, v42, v14
	s_waitcnt lgkmcnt(1)
	v_mul_f32_e32 v14, v26, v35
	v_fma_f32 v14, v25, v34, -v14
	v_mul_f32_e32 v25, v25, v35
	v_fmac_f32_e32 v25, v26, v34
	s_waitcnt lgkmcnt(0)
	v_mul_f32_e32 v26, v25, v37
	v_fma_f32 v34, v36, v14, -v26
	v_mul_f32_e32 v14, v14, v37
	v_fmac_f32_e32 v14, v36, v25
	v_mul_f32_e32 v25, v47, v14
	v_mul_f32_e32 v26, v45, v14
	v_add_lshl_u32 v14, v12, v28, 3
	v_cndmask_b32_e32 v14, -1, v14, vcc
	v_readfirstlane_b32 s2, v13
	v_fma_f32 v25, v45, v34, -v25
	v_fmac_f32_e32 v26, v47, v34
	s_nop 2
	buffer_store_dwordx2 v[0:1], v14, s[8:11], s2 offen
	v_add_u32_e32 v0, 0x50, v27
	v_add_lshl_u32 v1, v12, v29, 3
	v_mul_lo_u32 v0, s16, v0
	v_cndmask_b32_e32 v1, -1, v1, vcc
	buffer_store_dwordx2 v[2:3], v1, s[8:11], s2 offen
	v_add_u32_e32 v1, 0x78, v27
	v_mul_lo_u32 v1, s16, v1
	v_add_lshl_u32 v0, v12, v0, 3
	v_cndmask_b32_e32 v0, -1, v0, vcc
	buffer_store_dwordx2 v[4:5], v0, s[8:11], s2 offen
	v_add_lshl_u32 v0, v12, v1, 3
	v_cndmask_b32_e32 v0, -1, v0, vcc
	v_mad_u32_u24 v1, v33, s3, v30
	v_mul_lo_u32 v2, s16, v1
	buffer_store_dwordx2 v[6:7], v0, s[8:11], s2 offen
	v_add_u32_e32 v0, 40, v1
	v_mul_lo_u32 v0, s16, v0
	v_add_lshl_u32 v2, v12, v2, 3
	v_cndmask_b32_e32 v2, -1, v2, vcc
	buffer_store_dwordx2 v[8:9], v2, s[8:11], s2 offen
	v_add_lshl_u32 v0, v12, v0, 3
	v_cndmask_b32_e32 v0, -1, v0, vcc
	v_add_u32_e32 v2, 0x50, v1
	v_mul_lo_u32 v2, s16, v2
	buffer_store_dwordx2 v[10:11], v0, s[8:11], s2 offen
	v_add_u32_e32 v0, 0x78, v1
	v_mul_lo_u32 v0, s16, v0
	v_add_lshl_u32 v1, v12, v2, 3
	v_cndmask_b32_e32 v1, -1, v1, vcc
	buffer_store_dwordx2 v[15:16], v1, s[8:11], s2 offen
	v_add_lshl_u32 v0, v12, v0, 3
	v_cndmask_b32_e32 v0, -1, v0, vcc
	v_mad_u32_u24 v1, v32, s3, v31
	buffer_store_dwordx2 v[17:18], v0, s[8:11], s2 offen
	v_add_u32_e32 v0, 40, v1
	v_mul_lo_u32 v2, s16, v1
	v_mul_lo_u32 v0, s16, v0
	v_add_lshl_u32 v2, v12, v2, 3
	v_add_lshl_u32 v0, v12, v0, 3
	v_cndmask_b32_e64 v2, -1, v2, s[0:1]
	v_cndmask_b32_e64 v0, -1, v0, s[0:1]
	buffer_store_dwordx2 v[19:20], v2, s[8:11], s2 offen
	v_add_u32_e32 v2, 0x50, v1
	buffer_store_dwordx2 v[21:22], v0, s[8:11], s2 offen
	v_add_u32_e32 v0, 0x78, v1
	v_mul_lo_u32 v2, s16, v2
	v_mul_lo_u32 v0, s16, v0
	v_add_lshl_u32 v1, v12, v2, 3
	v_add_lshl_u32 v0, v12, v0, 3
	v_cndmask_b32_e64 v1, -1, v1, s[0:1]
	v_cndmask_b32_e64 v0, -1, v0, s[0:1]
	buffer_store_dwordx2 v[23:24], v1, s[8:11], s2 offen
	buffer_store_dwordx2 v[25:26], v0, s[8:11], s2 offen
	s_endpgm
	.section	.rodata,"a",@progbits
	.p2align	6, 0x0
	.amdhsa_kernel fft_rtc_fwd_len160_factors_4_10_4_wgs_192_tpt_16_sp_ip_CI_sbcc_twdbase6_3step_dirReg_intrinsicReadWrite
		.amdhsa_group_segment_fixed_size 0
		.amdhsa_private_segment_fixed_size 0
		.amdhsa_kernarg_size 96
		.amdhsa_user_sgpr_count 6
		.amdhsa_user_sgpr_private_segment_buffer 1
		.amdhsa_user_sgpr_dispatch_ptr 0
		.amdhsa_user_sgpr_queue_ptr 0
		.amdhsa_user_sgpr_kernarg_segment_ptr 1
		.amdhsa_user_sgpr_dispatch_id 0
		.amdhsa_user_sgpr_flat_scratch_init 0
		.amdhsa_user_sgpr_private_segment_size 0
		.amdhsa_uses_dynamic_stack 0
		.amdhsa_system_sgpr_private_segment_wavefront_offset 0
		.amdhsa_system_sgpr_workgroup_id_x 1
		.amdhsa_system_sgpr_workgroup_id_y 0
		.amdhsa_system_sgpr_workgroup_id_z 0
		.amdhsa_system_sgpr_workgroup_info 0
		.amdhsa_system_vgpr_workitem_id 0
		.amdhsa_next_free_vgpr 63
		.amdhsa_next_free_sgpr 41
		.amdhsa_reserve_vcc 1
		.amdhsa_reserve_flat_scratch 0
		.amdhsa_float_round_mode_32 0
		.amdhsa_float_round_mode_16_64 0
		.amdhsa_float_denorm_mode_32 3
		.amdhsa_float_denorm_mode_16_64 3
		.amdhsa_dx10_clamp 1
		.amdhsa_ieee_mode 1
		.amdhsa_fp16_overflow 0
		.amdhsa_exception_fp_ieee_invalid_op 0
		.amdhsa_exception_fp_denorm_src 0
		.amdhsa_exception_fp_ieee_div_zero 0
		.amdhsa_exception_fp_ieee_overflow 0
		.amdhsa_exception_fp_ieee_underflow 0
		.amdhsa_exception_fp_ieee_inexact 0
		.amdhsa_exception_int_div_zero 0
	.end_amdhsa_kernel
	.text
.Lfunc_end0:
	.size	fft_rtc_fwd_len160_factors_4_10_4_wgs_192_tpt_16_sp_ip_CI_sbcc_twdbase6_3step_dirReg_intrinsicReadWrite, .Lfunc_end0-fft_rtc_fwd_len160_factors_4_10_4_wgs_192_tpt_16_sp_ip_CI_sbcc_twdbase6_3step_dirReg_intrinsicReadWrite
                                        ; -- End function
	.section	.AMDGPU.csdata,"",@progbits
; Kernel info:
; codeLenInByte = 6796
; NumSgprs: 45
; NumVgprs: 63
; ScratchSize: 0
; MemoryBound: 0
; FloatMode: 240
; IeeeMode: 1
; LDSByteSize: 0 bytes/workgroup (compile time only)
; SGPRBlocks: 5
; VGPRBlocks: 15
; NumSGPRsForWavesPerEU: 45
; NumVGPRsForWavesPerEU: 63
; Occupancy: 4
; WaveLimiterHint : 0
; COMPUTE_PGM_RSRC2:SCRATCH_EN: 0
; COMPUTE_PGM_RSRC2:USER_SGPR: 6
; COMPUTE_PGM_RSRC2:TRAP_HANDLER: 0
; COMPUTE_PGM_RSRC2:TGID_X_EN: 1
; COMPUTE_PGM_RSRC2:TGID_Y_EN: 0
; COMPUTE_PGM_RSRC2:TGID_Z_EN: 0
; COMPUTE_PGM_RSRC2:TIDIG_COMP_CNT: 0
	.type	__hip_cuid_1c125b95b88dd641,@object ; @__hip_cuid_1c125b95b88dd641
	.section	.bss,"aw",@nobits
	.globl	__hip_cuid_1c125b95b88dd641
__hip_cuid_1c125b95b88dd641:
	.byte	0                               ; 0x0
	.size	__hip_cuid_1c125b95b88dd641, 1

	.ident	"AMD clang version 19.0.0git (https://github.com/RadeonOpenCompute/llvm-project roc-6.4.0 25133 c7fe45cf4b819c5991fe208aaa96edf142730f1d)"
	.section	".note.GNU-stack","",@progbits
	.addrsig
	.addrsig_sym __hip_cuid_1c125b95b88dd641
	.amdgpu_metadata
---
amdhsa.kernels:
  - .args:
      - .actual_access:  read_only
        .address_space:  global
        .offset:         0
        .size:           8
        .value_kind:     global_buffer
      - .address_space:  global
        .offset:         8
        .size:           8
        .value_kind:     global_buffer
      - .offset:         16
        .size:           8
        .value_kind:     by_value
      - .actual_access:  read_only
        .address_space:  global
        .offset:         24
        .size:           8
        .value_kind:     global_buffer
      - .actual_access:  read_only
        .address_space:  global
        .offset:         32
        .size:           8
        .value_kind:     global_buffer
      - .offset:         40
        .size:           8
        .value_kind:     by_value
      - .actual_access:  read_only
        .address_space:  global
        .offset:         48
        .size:           8
        .value_kind:     global_buffer
      - .actual_access:  read_only
        .address_space:  global
        .offset:         56
        .size:           8
        .value_kind:     global_buffer
      - .offset:         64
        .size:           4
        .value_kind:     by_value
      - .actual_access:  read_only
        .address_space:  global
        .offset:         72
        .size:           8
        .value_kind:     global_buffer
      - .actual_access:  read_only
        .address_space:  global
        .offset:         80
        .size:           8
        .value_kind:     global_buffer
      - .address_space:  global
        .offset:         88
        .size:           8
        .value_kind:     global_buffer
    .group_segment_fixed_size: 0
    .kernarg_segment_align: 8
    .kernarg_segment_size: 96
    .language:       OpenCL C
    .language_version:
      - 2
      - 0
    .max_flat_workgroup_size: 192
    .name:           fft_rtc_fwd_len160_factors_4_10_4_wgs_192_tpt_16_sp_ip_CI_sbcc_twdbase6_3step_dirReg_intrinsicReadWrite
    .private_segment_fixed_size: 0
    .sgpr_count:     45
    .sgpr_spill_count: 0
    .symbol:         fft_rtc_fwd_len160_factors_4_10_4_wgs_192_tpt_16_sp_ip_CI_sbcc_twdbase6_3step_dirReg_intrinsicReadWrite.kd
    .uniform_work_group_size: 1
    .uses_dynamic_stack: false
    .vgpr_count:     63
    .vgpr_spill_count: 0
    .wavefront_size: 64
amdhsa.target:   amdgcn-amd-amdhsa--gfx906
amdhsa.version:
  - 1
  - 2
...

	.end_amdgpu_metadata
